;; amdgpu-corpus repo=ROCm/rocFFT kind=compiled arch=gfx1030 opt=O3
	.text
	.amdgcn_target "amdgcn-amd-amdhsa--gfx1030"
	.amdhsa_code_object_version 6
	.protected	fft_rtc_fwd_len1080_factors_6_10_6_3_wgs_216_tpt_108_halfLds_half_op_CI_CI_unitstride_sbrr_C2R_dirReg ; -- Begin function fft_rtc_fwd_len1080_factors_6_10_6_3_wgs_216_tpt_108_halfLds_half_op_CI_CI_unitstride_sbrr_C2R_dirReg
	.globl	fft_rtc_fwd_len1080_factors_6_10_6_3_wgs_216_tpt_108_halfLds_half_op_CI_CI_unitstride_sbrr_C2R_dirReg
	.p2align	8
	.type	fft_rtc_fwd_len1080_factors_6_10_6_3_wgs_216_tpt_108_halfLds_half_op_CI_CI_unitstride_sbrr_C2R_dirReg,@function
fft_rtc_fwd_len1080_factors_6_10_6_3_wgs_216_tpt_108_halfLds_half_op_CI_CI_unitstride_sbrr_C2R_dirReg: ; @fft_rtc_fwd_len1080_factors_6_10_6_3_wgs_216_tpt_108_halfLds_half_op_CI_CI_unitstride_sbrr_C2R_dirReg
; %bb.0:
	s_clause 0x2
	s_load_dwordx4 s[12:15], s[4:5], 0x0
	s_load_dwordx4 s[8:11], s[4:5], 0x58
	;; [unrolled: 1-line block ×3, first 2 shown]
	v_mul_u32_u24_e32 v1, 0x25f, v0
	v_mov_b32_e32 v8, 0
	v_mov_b32_e32 v6, 0
	;; [unrolled: 1-line block ×3, first 2 shown]
	v_lshrrev_b32_e32 v5, 16, v1
	v_mov_b32_e32 v11, v8
	v_lshl_add_u32 v10, s6, 1, v5
	s_waitcnt lgkmcnt(0)
	v_cmp_lt_u64_e64 s0, s[14:15], 2
	s_and_b32 vcc_lo, exec_lo, s0
	s_cbranch_vccnz .LBB0_8
; %bb.1:
	s_load_dwordx2 s[0:1], s[4:5], 0x10
	v_mov_b32_e32 v6, 0
	v_mov_b32_e32 v7, 0
	s_add_u32 s2, s18, 8
	s_addc_u32 s3, s19, 0
	v_mov_b32_e32 v1, v6
	s_add_u32 s6, s16, 8
	v_mov_b32_e32 v2, v7
	s_addc_u32 s7, s17, 0
	s_mov_b64 s[22:23], 1
	s_waitcnt lgkmcnt(0)
	s_add_u32 s20, s0, 8
	s_addc_u32 s21, s1, 0
.LBB0_2:                                ; =>This Inner Loop Header: Depth=1
	s_load_dwordx2 s[24:25], s[20:21], 0x0
                                        ; implicit-def: $vgpr3_vgpr4
	s_mov_b32 s0, exec_lo
	s_waitcnt lgkmcnt(0)
	v_or_b32_e32 v9, s25, v11
	v_cmpx_ne_u64_e32 0, v[8:9]
	s_xor_b32 s1, exec_lo, s0
	s_cbranch_execz .LBB0_4
; %bb.3:                                ;   in Loop: Header=BB0_2 Depth=1
	v_cvt_f32_u32_e32 v3, s24
	v_cvt_f32_u32_e32 v4, s25
	s_sub_u32 s0, 0, s24
	s_subb_u32 s26, 0, s25
	v_fmac_f32_e32 v3, 0x4f800000, v4
	v_rcp_f32_e32 v3, v3
	v_mul_f32_e32 v3, 0x5f7ffffc, v3
	v_mul_f32_e32 v4, 0x2f800000, v3
	v_trunc_f32_e32 v4, v4
	v_fmac_f32_e32 v3, 0xcf800000, v4
	v_cvt_u32_f32_e32 v4, v4
	v_cvt_u32_f32_e32 v3, v3
	v_mul_lo_u32 v9, s0, v4
	v_mul_hi_u32 v12, s0, v3
	v_mul_lo_u32 v13, s26, v3
	v_add_nc_u32_e32 v9, v12, v9
	v_mul_lo_u32 v12, s0, v3
	v_add_nc_u32_e32 v9, v9, v13
	v_mul_hi_u32 v13, v3, v12
	v_mul_lo_u32 v14, v3, v9
	v_mul_hi_u32 v15, v3, v9
	v_mul_hi_u32 v16, v4, v12
	v_mul_lo_u32 v12, v4, v12
	v_mul_hi_u32 v17, v4, v9
	v_mul_lo_u32 v9, v4, v9
	v_add_co_u32 v13, vcc_lo, v13, v14
	v_add_co_ci_u32_e32 v14, vcc_lo, 0, v15, vcc_lo
	v_add_co_u32 v12, vcc_lo, v13, v12
	v_add_co_ci_u32_e32 v12, vcc_lo, v14, v16, vcc_lo
	v_add_co_ci_u32_e32 v13, vcc_lo, 0, v17, vcc_lo
	v_add_co_u32 v9, vcc_lo, v12, v9
	v_add_co_ci_u32_e32 v12, vcc_lo, 0, v13, vcc_lo
	v_add_co_u32 v3, vcc_lo, v3, v9
	v_add_co_ci_u32_e32 v4, vcc_lo, v4, v12, vcc_lo
	v_mul_hi_u32 v9, s0, v3
	v_mul_lo_u32 v13, s26, v3
	v_mul_lo_u32 v12, s0, v4
	v_add_nc_u32_e32 v9, v9, v12
	v_mul_lo_u32 v12, s0, v3
	v_add_nc_u32_e32 v9, v9, v13
	v_mul_hi_u32 v13, v3, v12
	v_mul_lo_u32 v14, v3, v9
	v_mul_hi_u32 v15, v3, v9
	v_mul_hi_u32 v16, v4, v12
	v_mul_lo_u32 v12, v4, v12
	v_mul_hi_u32 v17, v4, v9
	v_mul_lo_u32 v9, v4, v9
	v_add_co_u32 v13, vcc_lo, v13, v14
	v_add_co_ci_u32_e32 v14, vcc_lo, 0, v15, vcc_lo
	v_add_co_u32 v12, vcc_lo, v13, v12
	v_add_co_ci_u32_e32 v12, vcc_lo, v14, v16, vcc_lo
	v_add_co_ci_u32_e32 v13, vcc_lo, 0, v17, vcc_lo
	v_add_co_u32 v9, vcc_lo, v12, v9
	v_add_co_ci_u32_e32 v12, vcc_lo, 0, v13, vcc_lo
	v_add_co_u32 v9, vcc_lo, v3, v9
	v_add_co_ci_u32_e32 v14, vcc_lo, v4, v12, vcc_lo
	v_mul_hi_u32 v16, v10, v9
	v_mad_u64_u32 v[12:13], null, v11, v9, 0
	v_mad_u64_u32 v[3:4], null, v10, v14, 0
	v_mad_u64_u32 v[14:15], null, v11, v14, 0
	v_add_co_u32 v3, vcc_lo, v16, v3
	v_add_co_ci_u32_e32 v4, vcc_lo, 0, v4, vcc_lo
	v_add_co_u32 v3, vcc_lo, v3, v12
	v_add_co_ci_u32_e32 v3, vcc_lo, v4, v13, vcc_lo
	v_add_co_ci_u32_e32 v4, vcc_lo, 0, v15, vcc_lo
	v_add_co_u32 v9, vcc_lo, v3, v14
	v_add_co_ci_u32_e32 v12, vcc_lo, 0, v4, vcc_lo
	v_mul_lo_u32 v13, s25, v9
	v_mad_u64_u32 v[3:4], null, s24, v9, 0
	v_mul_lo_u32 v14, s24, v12
	v_sub_co_u32 v3, vcc_lo, v10, v3
	v_add3_u32 v4, v4, v14, v13
	v_sub_nc_u32_e32 v13, v11, v4
	v_subrev_co_ci_u32_e64 v13, s0, s25, v13, vcc_lo
	v_add_co_u32 v14, s0, v9, 2
	v_add_co_ci_u32_e64 v15, s0, 0, v12, s0
	v_sub_co_u32 v16, s0, v3, s24
	v_sub_co_ci_u32_e32 v4, vcc_lo, v11, v4, vcc_lo
	v_subrev_co_ci_u32_e64 v13, s0, 0, v13, s0
	v_cmp_le_u32_e32 vcc_lo, s24, v16
	v_cmp_eq_u32_e64 s0, s25, v4
	v_cndmask_b32_e64 v16, 0, -1, vcc_lo
	v_cmp_le_u32_e32 vcc_lo, s25, v13
	v_cndmask_b32_e64 v17, 0, -1, vcc_lo
	v_cmp_le_u32_e32 vcc_lo, s24, v3
	;; [unrolled: 2-line block ×3, first 2 shown]
	v_cndmask_b32_e64 v18, 0, -1, vcc_lo
	v_cmp_eq_u32_e32 vcc_lo, s25, v13
	v_cndmask_b32_e64 v3, v18, v3, s0
	v_cndmask_b32_e32 v13, v17, v16, vcc_lo
	v_add_co_u32 v16, vcc_lo, v9, 1
	v_add_co_ci_u32_e32 v17, vcc_lo, 0, v12, vcc_lo
	v_cmp_ne_u32_e32 vcc_lo, 0, v13
	v_cndmask_b32_e32 v4, v17, v15, vcc_lo
	v_cndmask_b32_e32 v13, v16, v14, vcc_lo
	v_cmp_ne_u32_e32 vcc_lo, 0, v3
	v_cndmask_b32_e32 v4, v12, v4, vcc_lo
	v_cndmask_b32_e32 v3, v9, v13, vcc_lo
.LBB0_4:                                ;   in Loop: Header=BB0_2 Depth=1
	s_andn2_saveexec_b32 s0, s1
	s_cbranch_execz .LBB0_6
; %bb.5:                                ;   in Loop: Header=BB0_2 Depth=1
	v_cvt_f32_u32_e32 v3, s24
	s_sub_i32 s1, 0, s24
	v_rcp_iflag_f32_e32 v3, v3
	v_mul_f32_e32 v3, 0x4f7ffffe, v3
	v_cvt_u32_f32_e32 v3, v3
	v_mul_lo_u32 v4, s1, v3
	v_mul_hi_u32 v4, v3, v4
	v_add_nc_u32_e32 v3, v3, v4
	v_mul_hi_u32 v3, v10, v3
	v_mul_lo_u32 v4, v3, s24
	v_add_nc_u32_e32 v9, 1, v3
	v_sub_nc_u32_e32 v4, v10, v4
	v_subrev_nc_u32_e32 v12, s24, v4
	v_cmp_le_u32_e32 vcc_lo, s24, v4
	v_cndmask_b32_e32 v4, v4, v12, vcc_lo
	v_cndmask_b32_e32 v3, v3, v9, vcc_lo
	v_cmp_le_u32_e32 vcc_lo, s24, v4
	v_add_nc_u32_e32 v9, 1, v3
	v_mov_b32_e32 v4, v8
	v_cndmask_b32_e32 v3, v3, v9, vcc_lo
.LBB0_6:                                ;   in Loop: Header=BB0_2 Depth=1
	s_or_b32 exec_lo, exec_lo, s0
	v_mul_lo_u32 v9, v4, s24
	v_mul_lo_u32 v14, v3, s25
	s_load_dwordx2 s[0:1], s[6:7], 0x0
	v_mad_u64_u32 v[12:13], null, v3, s24, 0
	s_load_dwordx2 s[24:25], s[2:3], 0x0
	s_add_u32 s22, s22, 1
	s_addc_u32 s23, s23, 0
	s_add_u32 s2, s2, 8
	s_addc_u32 s3, s3, 0
	s_add_u32 s6, s6, 8
	v_add3_u32 v9, v13, v14, v9
	v_sub_co_u32 v10, vcc_lo, v10, v12
	s_addc_u32 s7, s7, 0
	s_add_u32 s20, s20, 8
	v_sub_co_ci_u32_e32 v9, vcc_lo, v11, v9, vcc_lo
	s_addc_u32 s21, s21, 0
	s_waitcnt lgkmcnt(0)
	v_mul_lo_u32 v11, s0, v9
	v_mul_lo_u32 v12, s1, v10
	v_mad_u64_u32 v[6:7], null, s0, v10, v[6:7]
	v_mul_lo_u32 v9, s24, v9
	v_mul_lo_u32 v13, s25, v10
	v_mad_u64_u32 v[1:2], null, s24, v10, v[1:2]
	v_cmp_ge_u64_e64 s0, s[22:23], s[14:15]
	v_add3_u32 v7, v12, v7, v11
	v_add3_u32 v2, v13, v2, v9
	s_and_b32 vcc_lo, exec_lo, s0
	s_cbranch_vccnz .LBB0_9
; %bb.7:                                ;   in Loop: Header=BB0_2 Depth=1
	v_mov_b32_e32 v11, v4
	v_mov_b32_e32 v10, v3
	s_branch .LBB0_2
.LBB0_8:
	v_mov_b32_e32 v1, v6
	v_mov_b32_e32 v3, v10
	;; [unrolled: 1-line block ×4, first 2 shown]
.LBB0_9:
	s_load_dwordx2 s[0:1], s[4:5], 0x28
	v_and_b32_e32 v5, 1, v5
	v_mul_hi_u32 v8, 0x25ed098, v0
	s_lshl_b64 s[4:5], s[14:15], 3
	s_add_u32 s2, s18, s4
	s_addc_u32 s3, s19, s5
	s_waitcnt lgkmcnt(0)
	v_cmp_gt_u64_e32 vcc_lo, s[0:1], v[3:4]
	v_cmp_le_u64_e64 s1, s[0:1], v[3:4]
	v_cmp_eq_u32_e64 s0, 1, v5
                                        ; implicit-def: $vgpr5
	s_and_saveexec_b32 s6, s1
	s_xor_b32 s1, exec_lo, s6
; %bb.10:
	v_mul_u32_u24_e32 v5, 0x6c, v8
                                        ; implicit-def: $vgpr8
                                        ; implicit-def: $vgpr6_vgpr7
	v_sub_nc_u32_e32 v5, v0, v5
                                        ; implicit-def: $vgpr0
; %bb.11:
	s_or_saveexec_b32 s1, s1
	s_load_dwordx2 s[2:3], s[2:3], 0x0
	v_cndmask_b32_e64 v24, 0, 0x439, s0
	v_lshlrev_b32_e32 v18, 2, v24
	s_xor_b32 exec_lo, exec_lo, s1
	s_cbranch_execz .LBB0_15
; %bb.12:
	s_add_u32 s4, s16, s4
	s_addc_u32 s5, s17, s5
	v_lshlrev_b64 v[6:7], 2, v[6:7]
	s_load_dwordx2 s[4:5], s[4:5], 0x0
	s_waitcnt lgkmcnt(0)
	v_mul_lo_u32 v5, s5, v3
	v_mul_lo_u32 v11, s4, v4
	v_mad_u64_u32 v[9:10], null, s4, v3, 0
	s_mov_b32 s4, exec_lo
	v_add3_u32 v10, v10, v11, v5
	v_mul_u32_u24_e32 v5, 0x6c, v8
	v_lshlrev_b64 v[8:9], 2, v[9:10]
	v_sub_nc_u32_e32 v5, v0, v5
	v_lshlrev_b32_e32 v11, 2, v5
	v_add_co_u32 v0, s0, s8, v8
	v_add_co_ci_u32_e64 v8, s0, s9, v9, s0
	v_add_co_u32 v0, s0, v0, v6
	v_add_co_ci_u32_e64 v6, s0, v8, v7, s0
	v_add_co_u32 v7, s0, v0, v11
	v_add_co_ci_u32_e64 v8, s0, 0, v6, s0
	v_add_co_u32 v9, s0, 0x800, v7
	v_add_co_ci_u32_e64 v10, s0, 0, v8, s0
	s_clause 0x9
	global_load_dword v12, v[7:8], off
	global_load_dword v13, v[7:8], off offset:432
	global_load_dword v14, v[7:8], off offset:864
	global_load_dword v15, v[7:8], off offset:1296
	global_load_dword v8, v[7:8], off offset:1728
	global_load_dword v16, v[9:10], off offset:112
	global_load_dword v17, v[9:10], off offset:544
	global_load_dword v19, v[9:10], off offset:976
	global_load_dword v20, v[9:10], off offset:1408
	global_load_dword v9, v[9:10], off offset:1840
	v_add3_u32 v7, 0, v18, v11
	v_add_nc_u32_e32 v10, 0x200, v7
	v_add_nc_u32_e32 v11, 0x600, v7
	;; [unrolled: 1-line block ×4, first 2 shown]
	s_waitcnt vmcnt(8)
	ds_write2_b32 v7, v12, v13 offset1:108
	s_waitcnt vmcnt(6)
	ds_write2_b32 v10, v14, v15 offset0:88 offset1:196
	s_waitcnt vmcnt(4)
	ds_write2_b32 v11, v8, v16 offset0:48 offset1:156
	;; [unrolled: 2-line block ×4, first 2 shown]
	v_cmpx_eq_u32_e32 0x6b, v5
	s_cbranch_execz .LBB0_14
; %bb.13:
	v_add_co_u32 v5, s0, 0x1000, v0
	v_add_co_ci_u32_e64 v6, s0, 0, v6, s0
	global_load_dword v0, v[5:6], off offset:224
	v_mov_b32_e32 v5, 0x6b
	s_waitcnt vmcnt(0)
	ds_write_b32 v7, v0 offset:3892
.LBB0_14:
	s_or_b32 exec_lo, exec_lo, s4
.LBB0_15:
	s_or_b32 exec_lo, exec_lo, s1
	v_lshl_add_u32 v0, v24, 2, 0
	v_lshlrev_b32_e32 v6, 2, v5
	s_waitcnt lgkmcnt(0)
	s_barrier
	buffer_gl0_inv
	s_add_u32 s1, s12, 0x10c8
	v_add_nc_u32_e32 v20, v0, v6
	v_sub_nc_u32_e32 v8, v0, v6
	s_addc_u32 s4, s13, 0
	s_mov_b32 s5, exec_lo
	ds_read_u16 v6, v20
	ds_read_u16 v7, v8 offset:4320
	s_waitcnt lgkmcnt(0)
	v_add_f16_e32 v10, v7, v6
	v_sub_f16_e32 v9, v6, v7
                                        ; implicit-def: $vgpr6_vgpr7
	v_cmpx_ne_u32_e32 0, v5
	s_xor_b32 s5, exec_lo, s5
	s_cbranch_execz .LBB0_17
; %bb.16:
	v_mov_b32_e32 v6, 0
	v_lshlrev_b64 v[11:12], 2, v[5:6]
	v_add_co_u32 v11, s0, s1, v11
	v_add_co_ci_u32_e64 v12, s0, s4, v12, s0
	global_load_dword v7, v[11:12], off
	ds_read_u16 v11, v8 offset:4322
	ds_read_u16 v12, v20 offset:2
	s_waitcnt lgkmcnt(0)
	v_add_f16_e32 v13, v11, v12
	v_sub_f16_e32 v11, v12, v11
	s_waitcnt vmcnt(0)
	v_lshrrev_b32_e32 v14, 16, v7
	v_fma_f16 v12, v9, v14, v10
	v_fma_f16 v15, v13, v14, v11
	v_fma_f16 v10, -v9, v14, v10
	v_fma_f16 v11, v13, v14, -v11
	v_fma_f16 v12, -v7, v13, v12
	v_fmac_f16_e32 v15, v9, v7
	v_fmac_f16_e32 v10, v7, v13
	;; [unrolled: 1-line block ×3, first 2 shown]
	v_mov_b32_e32 v7, v6
	v_mov_b32_e32 v6, v5
	v_pack_b32_f16 v9, v12, v15
	v_pack_b32_f16 v10, v10, v11
	ds_write_b32 v20, v9
	ds_write_b32 v8, v10 offset:4320
                                        ; implicit-def: $vgpr10
                                        ; implicit-def: $vgpr9
.LBB0_17:
	s_andn2_saveexec_b32 s0, s5
	s_cbranch_execz .LBB0_19
; %bb.18:
	v_pack_b32_f16 v6, v10, v9
	ds_write_b32 v20, v6
	ds_read_b32 v6, v0 offset:2160
	s_waitcnt lgkmcnt(0)
	v_pk_mul_f16 v9, 0xc0004000, v6
	v_mov_b32_e32 v6, 0
	v_mov_b32_e32 v7, 0
	ds_write_b32 v0, v9 offset:2160
.LBB0_19:
	s_or_b32 exec_lo, exec_lo, s0
	v_lshlrev_b64 v[6:7], 2, v[6:7]
	v_lshl_add_u32 v21, v5, 2, 0
	v_add_nc_u32_e32 v19, v21, v18
	v_add_co_u32 v6, s0, s1, v6
	v_add_co_ci_u32_e64 v7, s0, s4, v7, s0
	v_add_nc_u32_e32 v23, 0x800, v19
	v_add_nc_u32_e32 v25, 0x400, v19
	s_clause 0x3
	global_load_dword v9, v[6:7], off offset:432
	global_load_dword v10, v[6:7], off offset:864
	;; [unrolled: 1-line block ×4, first 2 shown]
	ds_read_b32 v7, v20 offset:432
	ds_read_b32 v12, v8 offset:3888
	v_mad_u32_u24 v21, v5, 20, v21
	v_cmp_gt_u32_e64 s0, 0x48, v5
	v_add_nc_u32_e32 v29, v21, v18
	s_waitcnt lgkmcnt(0)
	v_add_f16_e32 v13, v7, v12
	v_add_f16_sdwa v14, v12, v7 dst_sel:DWORD dst_unused:UNUSED_PAD src0_sel:WORD_1 src1_sel:WORD_1
	v_sub_f16_e32 v15, v7, v12
	v_sub_f16_sdwa v7, v7, v12 dst_sel:DWORD dst_unused:UNUSED_PAD src0_sel:WORD_1 src1_sel:WORD_1
	s_waitcnt vmcnt(3)
	v_lshrrev_b32_e32 v16, 16, v9
	v_fma_f16 v12, v15, v16, v13
	v_fma_f16 v17, v14, v16, v7
	v_fma_f16 v13, -v15, v16, v13
	v_fma_f16 v7, v14, v16, -v7
	v_fma_f16 v12, -v9, v14, v12
	v_fmac_f16_e32 v17, v15, v9
	v_fmac_f16_e32 v13, v9, v14
	;; [unrolled: 1-line block ×3, first 2 shown]
	v_pack_b32_f16 v9, v12, v17
	s_waitcnt vmcnt(2)
	v_lshrrev_b32_e32 v12, 16, v10
	v_pack_b32_f16 v7, v13, v7
	ds_write_b32 v20, v9 offset:432
	ds_write_b32 v8, v7 offset:3888
	ds_read_b32 v7, v20 offset:864
	ds_read_b32 v9, v8 offset:3456
	s_waitcnt lgkmcnt(0)
	v_add_f16_e32 v13, v7, v9
	v_add_f16_sdwa v14, v9, v7 dst_sel:DWORD dst_unused:UNUSED_PAD src0_sel:WORD_1 src1_sel:WORD_1
	v_sub_f16_e32 v15, v7, v9
	v_sub_f16_sdwa v7, v7, v9 dst_sel:DWORD dst_unused:UNUSED_PAD src0_sel:WORD_1 src1_sel:WORD_1
	v_fma_f16 v9, v15, v12, v13
	v_fma_f16 v16, v14, v12, v7
	v_fma_f16 v13, -v15, v12, v13
	v_fma_f16 v7, v14, v12, -v7
	v_fma_f16 v9, -v10, v14, v9
	v_fmac_f16_e32 v16, v15, v10
	v_fmac_f16_e32 v13, v10, v14
	;; [unrolled: 1-line block ×3, first 2 shown]
	s_waitcnt vmcnt(1)
	v_lshrrev_b32_e32 v10, 16, v11
	v_pack_b32_f16 v9, v9, v16
	v_pack_b32_f16 v7, v13, v7
	ds_write_b32 v20, v9 offset:864
	ds_write_b32 v8, v7 offset:3456
	ds_read_b32 v7, v20 offset:1296
	ds_read_b32 v9, v8 offset:3024
	s_waitcnt lgkmcnt(0)
	v_add_f16_e32 v12, v7, v9
	v_add_f16_sdwa v13, v9, v7 dst_sel:DWORD dst_unused:UNUSED_PAD src0_sel:WORD_1 src1_sel:WORD_1
	v_sub_f16_e32 v14, v7, v9
	v_sub_f16_sdwa v7, v7, v9 dst_sel:DWORD dst_unused:UNUSED_PAD src0_sel:WORD_1 src1_sel:WORD_1
	v_fma_f16 v9, v14, v10, v12
	v_fma_f16 v15, v13, v10, v7
	v_fma_f16 v12, -v14, v10, v12
	v_fma_f16 v7, v13, v10, -v7
	s_waitcnt vmcnt(0)
	v_lshrrev_b32_e32 v10, 16, v6
	v_fma_f16 v9, -v11, v13, v9
	v_fmac_f16_e32 v15, v14, v11
	v_fmac_f16_e32 v12, v11, v13
	;; [unrolled: 1-line block ×3, first 2 shown]
	v_pack_b32_f16 v9, v9, v15
	v_pack_b32_f16 v7, v12, v7
	ds_write_b32 v20, v9 offset:1296
	ds_write_b32 v8, v7 offset:3024
	ds_read_b32 v7, v20 offset:1728
	ds_read_b32 v9, v8 offset:2592
	s_waitcnt lgkmcnt(0)
	v_add_f16_e32 v11, v7, v9
	v_add_f16_sdwa v12, v9, v7 dst_sel:DWORD dst_unused:UNUSED_PAD src0_sel:WORD_1 src1_sel:WORD_1
	v_sub_f16_e32 v13, v7, v9
	v_sub_f16_sdwa v7, v7, v9 dst_sel:DWORD dst_unused:UNUSED_PAD src0_sel:WORD_1 src1_sel:WORD_1
	v_fma_f16 v9, v13, v10, v11
	v_fma_f16 v14, v12, v10, v7
	v_fma_f16 v11, -v13, v10, v11
	v_fma_f16 v7, v12, v10, -v7
	v_fma_f16 v9, -v6, v12, v9
	v_fmac_f16_e32 v14, v13, v6
	v_fmac_f16_e32 v11, v6, v12
	;; [unrolled: 1-line block ×3, first 2 shown]
	v_add_nc_u32_e32 v12, 0xc00, v19
	v_pack_b32_f16 v6, v9, v14
	v_add_nc_u32_e32 v9, 0x600, v19
	v_pack_b32_f16 v7, v11, v7
	ds_write_b32 v20, v6 offset:1728
	ds_write_b32 v8, v7 offset:2592
	s_waitcnt lgkmcnt(0)
	s_barrier
	buffer_gl0_inv
	s_barrier
	buffer_gl0_inv
	ds_read2_b32 v[10:11], v9 offset0:84 offset1:156
	ds_read2_b32 v[8:9], v12 offset0:60 offset1:132
	;; [unrolled: 1-line block ×3, first 2 shown]
	ds_read_b32 v26, v19 offset:4032
	ds_read2_b32 v[14:15], v25 offset0:32 offset1:104
	ds_read_b32 v6, v20
	ds_read2_b32 v[16:17], v19 offset0:108 offset1:180
	s_waitcnt lgkmcnt(0)
	s_barrier
	buffer_gl0_inv
	v_pk_add_f16 v33, v11, v9
	v_pk_add_f16 v7, v10, v8
	v_pk_add_f16 v22, v10, v8 neg_lo:[0,1] neg_hi:[0,1]
	v_pk_add_f16 v32, v15, v13
	v_pk_add_f16 v30, v6, v15
	v_pk_add_f16 v15, v15, v13 neg_lo:[0,1] neg_hi:[0,1]
	;; [unrolled: 3-line block ×3, first 2 shown]
	v_pk_fma_f16 v6, v32, 0.5, v6 op_sel_hi:[1,0,1] neg_lo:[1,0,0] neg_hi:[1,0,0]
	v_pk_mul_f16 v15, 0x3aee, v15 op_sel_hi:[0,1]
	v_pk_fma_f16 v17, v33, 0.5, v17 op_sel_hi:[1,0,1] neg_lo:[1,0,0] neg_hi:[1,0,0]
	v_pk_add_f16 v28, v12, v26 neg_lo:[0,1] neg_hi:[0,1]
	v_pk_fma_f16 v7, v7, 0.5, v16 op_sel_hi:[1,0,1] neg_lo:[1,0,0] neg_hi:[1,0,0]
	v_pk_mul_f16 v11, 0x3aee, v22 op_sel_hi:[0,1]
	v_pk_fma_f16 v22, v27, 0.5, v14 op_sel_hi:[1,0,1] neg_lo:[1,0,0] neg_hi:[1,0,0]
	v_pk_add_f16 v27, v31, v9
	v_pk_add_f16 v31, v6, v15 op_sel:[0,1] op_sel_hi:[1,0]
	v_pk_add_f16 v32, v6, v15 op_sel:[0,1] op_sel_hi:[1,0] neg_lo:[0,1] neg_hi:[0,1]
	v_pk_fma_f16 v6, 0x3aee, v34, v17 op_sel:[0,0,1] op_sel_hi:[0,1,0]
	v_pk_fma_f16 v17, 0x3aee, v34, v17 op_sel:[0,0,1] op_sel_hi:[0,1,0] neg_lo:[0,1,0] neg_hi:[0,1,0]
	v_pk_add_f16 v13, v30, v13
	v_pk_add_f16 v9, v7, v11 op_sel:[0,1] op_sel_hi:[1,0]
	v_pk_add_f16 v11, v7, v11 op_sel:[0,1] op_sel_hi:[1,0] neg_lo:[0,1] neg_hi:[0,1]
	v_pk_fma_f16 v7, 0x3aee, v28, v22 op_sel:[0,0,1] op_sel_hi:[0,1,0]
	v_pk_fma_f16 v22, 0x3aee, v28, v22 op_sel:[0,0,1] op_sel_hi:[0,1,0] neg_lo:[0,1,0] neg_hi:[0,1,0]
	v_lshrrev_b32_e32 v28, 16, v6
	v_bfi_b32 v6, 0xffff, v6, v17
	v_pk_add_f16 v30, v13, v27
	v_pk_add_f16 v33, v13, v27 neg_lo:[0,1] neg_hi:[0,1]
	v_lshrrev_b32_e32 v27, 16, v7
	v_bfi_b32 v7, 0xffff, v7, v22
	v_mul_f16_e32 v36, 0xbaee, v28
	v_pk_mul_f16 v37, v6, 0.5 op_sel_hi:[1,0]
	v_mul_f16_e32 v15, 0x3aee, v22
	v_mul_f16_e32 v35, 0x3aee, v17
	v_pk_mul_f16 v38, v7, 0.5 op_sel_hi:[1,0]
	v_fmac_f16_e32 v36, 0.5, v17
	v_pk_fma_f16 v37, 0xbaee3aee, v6, v37 op_sel:[0,0,1] op_sel_hi:[1,1,0] neg_lo:[0,0,1] neg_hi:[0,0,1]
	v_bfi_b32 v13, 0xffff, v11, v9
	v_fmac_f16_e32 v15, 0.5, v27
	v_mul_f16_e32 v27, 0xbaee, v27
	v_fmac_f16_e32 v35, 0.5, v28
	v_pk_fma_f16 v28, 0xbaee3aee, v7, v38 op_sel:[0,0,1] op_sel_hi:[1,1,0] neg_lo:[0,0,1] neg_hi:[0,0,1]
	v_pack_b32_f16 v17, v36, v37
	v_add_f16_sdwa v36, v32, v36 dst_sel:DWORD dst_unused:UNUSED_PAD src0_sel:WORD_1 src1_sel:DWORD
	v_fmac_f16_e32 v27, 0.5, v22
	v_add_f16_e32 v38, v31, v35
	v_pk_add_f16 v7, v13, v28 neg_lo:[0,1] neg_hi:[0,1]
	v_bfi_b32 v34, 0xffff, v32, v31
	v_sub_f16_e32 v35, v31, v35
	v_sub_f16_sdwa v31, v31, v37 dst_sel:DWORD dst_unused:UNUSED_PAD src0_sel:WORD_1 src1_sel:WORD_1
	v_pk_add_f16 v32, v32, v17 op_sel:[1,0] op_sel_hi:[0,1] neg_lo:[0,1] neg_hi:[0,1]
	v_sub_f16_e32 v6, v9, v15
	v_sub_f16_sdwa v17, v11, v27 dst_sel:DWORD dst_unused:UNUSED_PAD src0_sel:WORD_1 src1_sel:DWORD
	v_lshrrev_b32_e32 v22, 16, v7
	v_pack_b32_f16 v36, v38, v36
	v_pk_add_f16 v34, v34, v37
	v_alignbit_b32 v31, v31, v32, 16
	v_pack_b32_f16 v32, v35, v32
	ds_write2_b32 v29, v30, v36 offset1:1
	ds_write2_b32 v29, v34, v33 offset0:2 offset1:3
	ds_write2_b32 v29, v32, v31 offset0:4 offset1:5
	s_and_saveexec_b32 s1, s0
	s_cbranch_execz .LBB0_21
; %bb.20:
	v_pk_add_f16 v10, v16, v10
	v_pk_add_f16 v12, v14, v12
	v_add_f16_sdwa v11, v11, v27 dst_sel:DWORD dst_unused:UNUSED_PAD src0_sel:WORD_1 src1_sel:DWORD
	v_add_f16_e32 v9, v9, v15
	v_lshl_add_u32 v14, v24, 2, v21
	v_pk_add_f16 v8, v10, v8
	v_pk_add_f16 v10, v12, v26
	;; [unrolled: 1-line block ×3, first 2 shown]
	v_pack_b32_f16 v9, v9, v11
	v_add_nc_u32_e32 v13, 0xa20, v14
	v_add_nc_u32_e32 v15, 0xa28, v14
	v_pk_add_f16 v11, v8, v10
	v_pk_add_f16 v8, v8, v10 neg_lo:[0,1] neg_hi:[0,1]
	v_add_nc_u32_e32 v10, 0xa30, v14
	v_perm_b32 v14, v22, v7, 0x5040100
	v_perm_b32 v16, v17, v6, 0x5040100
	ds_write2_b32 v13, v11, v9 offset1:1
	ds_write2_b32 v15, v12, v8 offset1:1
	;; [unrolled: 1-line block ×3, first 2 shown]
.LBB0_21:
	s_or_b32 exec_lo, exec_lo, s1
	v_and_b32_e32 v8, 0xff, v5
	v_mov_b32_e32 v9, 9
	s_waitcnt lgkmcnt(0)
	s_barrier
	buffer_gl0_inv
	v_mul_lo_u16 v8, 0xab, v8
	v_add_nc_u32_e32 v30, 0xa00, v19
	v_mov_b32_e32 v36, 2
	v_add_nc_u32_e32 v37, 0x200, v19
	v_lshrrev_b16 v16, 10, v8
	v_mul_lo_u16 v8, v16, 6
	v_and_b32_e32 v16, 0xffff, v16
	v_sub_nc_u16 v32, v5, v8
	v_mad_u32_u24 v16, 0xf0, v16, 0
	v_mul_u32_u24_sdwa v8, v32, v9 dst_sel:DWORD dst_unused:UNUSED_PAD src0_sel:BYTE_0 src1_sel:DWORD
	v_lshlrev_b32_sdwa v32, v36, v32 dst_sel:DWORD dst_unused:UNUSED_PAD src0_sel:DWORD src1_sel:BYTE_0
	v_lshlrev_b32_e32 v24, 2, v8
	v_add3_u32 v16, v16, v32, v18
	s_clause 0x2
	global_load_dwordx4 v[8:11], v24, s[12:13]
	global_load_dwordx4 v[12:15], v24, s[12:13] offset:16
	global_load_dword v33, v24, s[12:13] offset:32
	ds_read_b32 v34, v20
	ds_read2_b32 v[26:27], v23 offset0:28 offset1:136
	ds_read_b32 v35, v19 offset:3888
	ds_read2_b32 v[28:29], v19 offset0:108 offset1:216
	ds_read2_b32 v[24:25], v25 offset0:68 offset1:176
	;; [unrolled: 1-line block ×3, first 2 shown]
	s_waitcnt vmcnt(0) lgkmcnt(0)
	s_barrier
	buffer_gl0_inv
	v_lshrrev_b32_e32 v38, 16, v34
	v_lshrrev_b32_e32 v39, 16, v27
	;; [unrolled: 1-line block ×10, first 2 shown]
	v_mul_f16_sdwa v32, v8, v41 dst_sel:DWORD dst_unused:UNUSED_PAD src0_sel:WORD_1 src1_sel:DWORD
	v_mul_f16_sdwa v47, v8, v28 dst_sel:DWORD dst_unused:UNUSED_PAD src0_sel:WORD_1 src1_sel:DWORD
	v_mul_f16_sdwa v48, v9, v42 dst_sel:DWORD dst_unused:UNUSED_PAD src0_sel:WORD_1 src1_sel:DWORD
	v_mul_f16_sdwa v49, v9, v29 dst_sel:DWORD dst_unused:UNUSED_PAD src0_sel:WORD_1 src1_sel:DWORD
	v_mul_f16_sdwa v50, v10, v43 dst_sel:DWORD dst_unused:UNUSED_PAD src0_sel:WORD_1 src1_sel:DWORD
	v_mul_f16_sdwa v51, v10, v24 dst_sel:DWORD dst_unused:UNUSED_PAD src0_sel:WORD_1 src1_sel:DWORD
	v_mul_f16_sdwa v52, v11, v36 dst_sel:DWORD dst_unused:UNUSED_PAD src0_sel:WORD_1 src1_sel:DWORD
	v_mul_f16_sdwa v53, v11, v25 dst_sel:DWORD dst_unused:UNUSED_PAD src0_sel:WORD_1 src1_sel:DWORD
	v_mul_f16_sdwa v54, v12, v44 dst_sel:DWORD dst_unused:UNUSED_PAD src0_sel:WORD_1 src1_sel:DWORD
	v_mul_f16_sdwa v55, v12, v26 dst_sel:DWORD dst_unused:UNUSED_PAD src0_sel:WORD_1 src1_sel:DWORD
	v_mul_f16_sdwa v56, v39, v13 dst_sel:DWORD dst_unused:UNUSED_PAD src0_sel:DWORD src1_sel:WORD_1
	v_mul_f16_sdwa v57, v27, v13 dst_sel:DWORD dst_unused:UNUSED_PAD src0_sel:DWORD src1_sel:WORD_1
	;; [unrolled: 1-line block ×8, first 2 shown]
	v_fma_f16 v28, v8, v28, -v32
	v_fma_f16 v29, v9, v29, -v48
	v_fmac_f16_e32 v47, v8, v41
	v_fmac_f16_e32 v49, v9, v42
	v_fma_f16 v8, v10, v24, -v50
	v_fmac_f16_e32 v51, v10, v43
	v_fma_f16 v9, v11, v25, -v52
	;; [unrolled: 2-line block ×7, first 2 shown]
	v_fmac_f16_e32 v63, v40, v33
	v_add_f16_e32 v15, v34, v29
	v_sub_f16_e32 v27, v29, v9
	v_sub_f16_e32 v30, v13, v11
	;; [unrolled: 1-line block ×4, first 2 shown]
	v_add_f16_e32 v35, v38, v49
	v_add_f16_e32 v36, v53, v57
	;; [unrolled: 1-line block ×10, first 2 shown]
	v_sub_f16_e32 v39, v9, v11
	v_sub_f16_e32 v40, v49, v53
	;; [unrolled: 1-line block ×7, first 2 shown]
	v_add_f16_e32 v60, v47, v51
	v_sub_f16_e32 v8, v8, v14
	v_sub_f16_e32 v64, v10, v12
	v_add_f16_e32 v9, v15, v9
	v_add_f16_e32 v15, v27, v30
	;; [unrolled: 1-line block ×4, first 2 shown]
	v_fma_f16 v32, -0.5, v36, v38
	v_fmac_f16_e32 v38, -0.5, v42
	v_add_f16_e32 v10, v45, v10
	v_fma_f16 v35, -0.5, v46, v28
	v_fma_f16 v42, -0.5, v62, v47
	v_sub_f16_e32 v25, v49, v61
	v_sub_f16_e32 v43, v53, v49
	;; [unrolled: 1-line block ×7, first 2 shown]
	v_fmac_f16_e32 v28, -0.5, v54
	v_fmac_f16_e32 v47, -0.5, v67
	v_sub_f16_e32 v26, v53, v57
	v_sub_f16_e32 v58, v12, v14
	;; [unrolled: 1-line block ×3, first 2 shown]
	v_fma_f16 v24, -0.5, v24, v34
	v_fmac_f16_e32 v34, -0.5, v31
	v_add_f16_e32 v31, v40, v41
	v_add_f16_e32 v36, v50, v52
	;; [unrolled: 1-line block ×4, first 2 shown]
	v_fmamk_f16 v12, v48, 0x3b9c, v35
	v_fmamk_f16 v52, v8, 0xbb9c, v42
	v_add_f16_e32 v33, v43, v44
	v_add_f16_e32 v44, v51, v68
	v_fmamk_f16 v51, v49, 0xbb9c, v28
	v_fmac_f16_e32 v28, 0x3b9c, v49
	v_fmamk_f16 v53, v64, 0x3b9c, v47
	v_fmac_f16_e32 v47, 0xbb9c, v64
	v_sub_f16_e32 v29, v29, v13
	v_fmac_f16_e32 v35, 0xbb9c, v48
	v_fmac_f16_e32 v42, 0x3b9c, v8
	v_add_f16_e32 v43, v65, v66
	v_add_f16_e32 v9, v9, v11
	v_fmamk_f16 v11, v25, 0x3b9c, v24
	v_fmac_f16_e32 v24, 0xbb9c, v25
	v_fmamk_f16 v45, v26, 0xbb9c, v34
	v_fmac_f16_e32 v34, 0x3b9c, v26
	v_add_f16_e32 v30, v30, v57
	v_add_f16_e32 v41, v41, v59
	v_fmac_f16_e32 v12, 0x38b4, v49
	v_fmac_f16_e32 v52, 0xb8b4, v64
	v_add_f16_e32 v40, v56, v58
	v_fmac_f16_e32 v51, 0x38b4, v48
	v_fmac_f16_e32 v28, 0xb8b4, v48
	;; [unrolled: 1-line block ×4, first 2 shown]
	v_fmamk_f16 v46, v29, 0xbb9c, v32
	v_fmac_f16_e32 v32, 0x3b9c, v29
	v_fmac_f16_e32 v35, 0xb8b4, v49
	;; [unrolled: 1-line block ×3, first 2 shown]
	v_add_f16_e32 v9, v9, v13
	v_fmac_f16_e32 v11, 0x38b4, v26
	v_fmac_f16_e32 v24, 0xb8b4, v26
	;; [unrolled: 1-line block ×4, first 2 shown]
	v_add_f16_e32 v13, v30, v61
	v_add_f16_e32 v10, v10, v14
	v_add_f16_e32 v14, v41, v63
	v_fmac_f16_e32 v12, 0x34f2, v36
	v_fmac_f16_e32 v52, 0x34f2, v43
	v_fmamk_f16 v50, v39, 0x3b9c, v38
	v_fmac_f16_e32 v38, 0xbb9c, v39
	v_fmac_f16_e32 v51, 0x34f2, v40
	;; [unrolled: 1-line block ×13, first 2 shown]
	v_add_f16_e32 v8, v9, v10
	v_add_f16_e32 v15, v13, v14
	v_sub_f16_e32 v9, v9, v10
	v_sub_f16_e32 v10, v13, v14
	v_mul_f16_e32 v13, 0x38b4, v52
	v_mul_f16_e32 v27, 0xb8b4, v12
	v_fmac_f16_e32 v50, 0xb8b4, v29
	v_fmac_f16_e32 v38, 0x38b4, v29
	v_mul_f16_e32 v14, 0x3b9c, v53
	v_mul_f16_e32 v25, 0x34f2, v28
	;; [unrolled: 1-line block ×4, first 2 shown]
	v_fmac_f16_e32 v46, 0x34f2, v31
	v_fmac_f16_e32 v32, 0x34f2, v31
	v_mul_f16_e32 v26, 0x3a79, v35
	v_mul_f16_e32 v31, 0x3a79, v42
	v_fmac_f16_e32 v13, 0x3a79, v12
	v_fmac_f16_e32 v27, 0x3a79, v52
	;; [unrolled: 1-line block ×4, first 2 shown]
	v_pack_b32_f16 v33, v9, v10
	v_fmac_f16_e32 v14, 0x34f2, v51
	v_fma_f16 v10, v47, 0x3b9c, -v25
	v_fmac_f16_e32 v29, 0x34f2, v53
	v_fma_f16 v25, v28, 0xbb9c, -v30
	v_fma_f16 v12, v42, 0x38b4, -v26
	;; [unrolled: 1-line block ×3, first 2 shown]
	v_add_f16_e32 v30, v11, v13
	v_add_f16_e32 v39, v46, v27
	;; [unrolled: 1-line block ×8, first 2 shown]
	v_pack_b32_f16 v15, v8, v15
	v_sub_f16_e32 v8, v11, v13
	v_sub_f16_e32 v9, v45, v14
	;; [unrolled: 1-line block ×8, first 2 shown]
	v_pack_b32_f16 v12, v30, v39
	v_pack_b32_f16 v13, v31, v40
	;; [unrolled: 1-line block ×8, first 2 shown]
	ds_write2_b32 v16, v15, v12 offset1:6
	ds_write2_b32 v16, v13, v14 offset0:12 offset1:18
	ds_write2_b32 v16, v28, v33 offset0:24 offset1:30
	ds_write2_b32 v16, v29, v30 offset0:36 offset1:42
	ds_write2_b32 v16, v31, v32 offset0:48 offset1:54
	s_waitcnt lgkmcnt(0)
	s_barrier
	buffer_gl0_inv
	ds_read2_b32 v[14:15], v37 offset0:52 offset1:232
	ds_read2_b32 v[12:13], v23 offset0:28 offset1:208
	ds_read_b32 v23, v20
	ds_read_b32 v30, v19 offset:3600
	s_and_saveexec_b32 s1, s0
	s_cbranch_execz .LBB0_23
; %bb.22:
	v_add_nc_u32_e32 v6, 0x100, v19
	v_add_nc_u32_e32 v7, 0x700, v19
	;; [unrolled: 1-line block ×3, first 2 shown]
	ds_read2_b32 v[8:9], v6 offset0:44 offset1:224
	ds_read2_b32 v[10:11], v7 offset0:20 offset1:200
	;; [unrolled: 1-line block ×3, first 2 shown]
	s_waitcnt lgkmcnt(2)
	v_lshrrev_b32_e32 v24, 16, v8
	s_waitcnt lgkmcnt(1)
	v_lshrrev_b32_e32 v25, 16, v11
	;; [unrolled: 2-line block ×3, first 2 shown]
	v_lshrrev_b32_e32 v22, 16, v7
	v_lshrrev_b32_e32 v26, 16, v9
	v_lshrrev_b32_e32 v27, 16, v10
.LBB0_23:
	s_or_b32 exec_lo, exec_lo, s1
	v_subrev_nc_u32_e32 v16, 60, v5
	v_cmp_gt_u32_e64 s1, 60, v5
	v_mov_b32_e32 v29, 0
	s_waitcnt lgkmcnt(3)
	v_lshrrev_b32_e32 v44, 16, v14
	s_waitcnt lgkmcnt(2)
	v_lshrrev_b32_e32 v45, 16, v12
	v_lshrrev_b32_e32 v46, 16, v13
	v_cndmask_b32_e64 v39, v16, v5, s1
	v_add_nc_u32_e32 v16, 0x6c, v5
	s_waitcnt lgkmcnt(0)
	v_lshrrev_b32_e32 v47, 16, v30
	v_lshrrev_b32_e32 v43, 16, v23
	v_mul_i32_i24_e32 v28, 5, v39
	v_lshlrev_b32_e32 v39, 2, v39
	v_lshlrev_b64 v[28:29], 2, v[28:29]
	v_add_co_u32 v35, s1, s12, v28
	v_and_b32_e32 v28, 0xff, v16
	v_add_co_ci_u32_e64 v36, s1, s13, v29, s1
	v_cmp_lt_u32_e64 s1, 59, v5
	v_mul_lo_u16 v28, 0x89, v28
	s_clause 0x1
	global_load_dwordx4 v[31:34], v[35:36], off offset:216
	global_load_dword v40, v[35:36], off offset:232
	v_mov_b32_e32 v35, 5
	v_cndmask_b32_e64 v42, 0, 0x5a0, s1
	v_lshrrev_b16 v29, 13, v28
	v_add_nc_u32_e32 v42, 0, v42
	v_mul_lo_u16 v28, v29, 60
	v_add3_u32 v39, v42, v39, v18
	v_sub_nc_u16 v28, v16, v28
	v_lshrrev_b32_e32 v42, 16, v15
	v_add_nc_u32_e32 v48, 0x200, v39
	v_mul_u32_u24_sdwa v35, v28, v35 dst_sel:DWORD dst_unused:UNUSED_PAD src0_sel:BYTE_0 src1_sel:DWORD
	v_lshlrev_b32_e32 v41, 2, v35
	s_clause 0x1
	global_load_dwordx4 v[35:38], v41, s[12:13] offset:216
	global_load_dword v41, v41, s[12:13] offset:232
	s_waitcnt vmcnt(0)
	s_barrier
	buffer_gl0_inv
	v_mul_f16_sdwa v49, v31, v44 dst_sel:DWORD dst_unused:UNUSED_PAD src0_sel:WORD_1 src1_sel:DWORD
	v_mul_f16_sdwa v50, v31, v14 dst_sel:DWORD dst_unused:UNUSED_PAD src0_sel:WORD_1 src1_sel:DWORD
	;; [unrolled: 1-line block ×10, first 2 shown]
	v_fma_f16 v14, v31, v14, -v49
	v_fmac_f16_e32 v50, v31, v44
	v_fma_f16 v15, v32, v15, -v51
	v_fmac_f16_e32 v52, v32, v42
	;; [unrolled: 2-line block ×3, first 2 shown]
	v_fmac_f16_e32 v56, v34, v46
	v_fmac_f16_e32 v58, v40, v47
	v_fma_f16 v13, v34, v13, -v55
	v_fma_f16 v30, v40, v30, -v57
	v_add_f16_e32 v31, v23, v15
	v_sub_f16_e32 v33, v52, v56
	v_add_f16_e32 v34, v43, v52
	v_add_f16_e32 v40, v52, v56
	;; [unrolled: 1-line block ×3, first 2 shown]
	v_sub_f16_e32 v45, v54, v58
	v_add_f16_e32 v46, v50, v54
	v_add_f16_e32 v47, v54, v58
	v_mul_f16_sdwa v49, v26, v35 dst_sel:DWORD dst_unused:UNUSED_PAD src0_sel:DWORD src1_sel:WORD_1
	v_mul_f16_sdwa v52, v27, v36 dst_sel:DWORD dst_unused:UNUSED_PAD src0_sel:DWORD src1_sel:WORD_1
	;; [unrolled: 1-line block ×7, first 2 shown]
	v_add_f16_e32 v32, v15, v13
	v_sub_f16_e32 v15, v15, v13
	v_add_f16_e32 v44, v12, v30
	v_sub_f16_e32 v12, v12, v30
	v_mul_f16_sdwa v51, v9, v35 dst_sel:DWORD dst_unused:UNUSED_PAD src0_sel:DWORD src1_sel:WORD_1
	v_mul_f16_sdwa v53, v10, v36 dst_sel:DWORD dst_unused:UNUSED_PAD src0_sel:DWORD src1_sel:WORD_1
	;; [unrolled: 1-line block ×3, first 2 shown]
	v_add_f16_e32 v13, v31, v13
	v_add_f16_e32 v31, v34, v56
	v_fmac_f16_e32 v43, -0.5, v40
	v_add_f16_e32 v30, v42, v30
	v_fmac_f16_e32 v50, -0.5, v47
	v_fma_f16 v34, v9, v35, -v49
	v_fma_f16 v9, v10, v36, -v52
	;; [unrolled: 1-line block ×3, first 2 shown]
	v_fmac_f16_e32 v55, v25, v37
	v_fma_f16 v6, v6, v38, -v57
	v_fma_f16 v7, v7, v41, -v60
	v_fmac_f16_e32 v61, v22, v41
	v_fmac_f16_e32 v23, -0.5, v32
	v_fmac_f16_e32 v14, -0.5, v44
	v_add_f16_e32 v32, v46, v58
	v_fmac_f16_e32 v51, v26, v35
	v_fmac_f16_e32 v53, v27, v36
	;; [unrolled: 1-line block ×3, first 2 shown]
	v_fmamk_f16 v26, v15, 0xbaee, v43
	v_fmac_f16_e32 v43, 0x3aee, v15
	v_fmamk_f16 v15, v12, 0xbaee, v50
	v_fmac_f16_e32 v50, 0x3aee, v12
	v_add_f16_e32 v12, v13, v30
	v_sub_f16_e32 v13, v13, v30
	v_add_f16_e32 v30, v9, v6
	v_add_f16_e32 v37, v10, v7
	;; [unrolled: 1-line block ×3, first 2 shown]
	v_fmamk_f16 v11, v45, 0x3aee, v14
	v_fmac_f16_e32 v14, 0xbaee, v45
	v_add_f16_e32 v17, v31, v32
	v_sub_f16_e32 v22, v31, v32
	v_add_f16_e32 v27, v8, v9
	v_sub_f16_e32 v31, v53, v59
	;; [unrolled: 2-line block ×4, first 2 shown]
	v_mul_f16_e32 v44, 0x3aee, v15
	v_fmac_f16_e32 v8, -0.5, v30
	v_fmac_f16_e32 v34, -0.5, v37
	;; [unrolled: 1-line block ×3, first 2 shown]
	v_fmamk_f16 v25, v33, 0x3aee, v23
	v_fmac_f16_e32 v23, 0xbaee, v33
	v_add_f16_e32 v33, v53, v59
	v_sub_f16_e32 v35, v9, v6
	v_mul_f16_e32 v45, -0.5, v14
	v_mul_f16_e32 v46, 0xbaee, v11
	v_mul_f16_e32 v47, -0.5, v50
	v_add_f16_e32 v6, v27, v6
	v_fmac_f16_e32 v44, 0.5, v11
	v_fmamk_f16 v11, v31, 0x3aee, v8
	v_fmac_f16_e32 v8, 0xbaee, v31
	v_fmamk_f16 v27, v38, 0x3aee, v34
	v_fmac_f16_e32 v34, 0xbaee, v38
	;; [unrolled: 2-line block ×3, first 2 shown]
	v_add_f16_e32 v32, v24, v53
	v_pack_b32_f16 v52, v13, v22
	v_fmac_f16_e32 v24, -0.5, v33
	v_fmac_f16_e32 v45, 0x3aee, v50
	v_fmac_f16_e32 v46, 0.5, v15
	v_fmac_f16_e32 v47, 0xbaee, v14
	v_mul_f16_e32 v13, 0x3aee, v31
	v_mul_f16_e32 v14, -0.5, v34
	v_mul_f16_e32 v15, 0xbaee, v27
	v_mul_f16_e32 v30, -0.5, v51
	v_pack_b32_f16 v49, v12, v17
	v_add_f16_e32 v9, v32, v59
	v_add_f16_e32 v7, v36, v7
	;; [unrolled: 1-line block ×3, first 2 shown]
	v_fmamk_f16 v12, v35, 0xbaee, v24
	v_fmac_f16_e32 v24, 0x3aee, v35
	v_add_f16_e32 v32, v25, v44
	v_add_f16_e32 v33, v23, v45
	;; [unrolled: 1-line block ×3, first 2 shown]
	v_sub_f16_e32 v25, v25, v44
	v_sub_f16_e32 v23, v23, v45
	;; [unrolled: 1-line block ×4, first 2 shown]
	v_fmac_f16_e32 v13, 0.5, v27
	v_fmac_f16_e32 v14, 0x3aee, v51
	v_fmac_f16_e32 v15, 0.5, v31
	v_fmac_f16_e32 v30, 0xbaee, v34
	v_add_f16_e32 v36, v43, v47
	v_sub_f16_e32 v17, v6, v7
	v_sub_f16_e32 v22, v9, v10
	v_pack_b32_f16 v32, v32, v35
	v_pack_b32_f16 v35, v25, v26
	;; [unrolled: 1-line block ×3, first 2 shown]
	v_sub_f16_e32 v25, v11, v13
	v_sub_f16_e32 v23, v8, v14
	v_sub_f16_e32 v27, v12, v15
	v_sub_f16_e32 v26, v24, v30
	v_pack_b32_f16 v33, v33, v36
	ds_write2_b32 v39, v49, v32 offset1:60
	ds_write2_b32 v39, v33, v52 offset0:120 offset1:180
	ds_write2_b32 v48, v35, v31 offset0:112 offset1:172
	s_and_saveexec_b32 s1, s0
	s_cbranch_execz .LBB0_25
; %bb.24:
	v_and_b32_e32 v29, 0xffff, v29
	v_mov_b32_e32 v31, 2
	v_add_f16_e32 v12, v12, v15
	v_add_f16_e32 v9, v9, v10
	v_add_f16_e32 v6, v6, v7
	v_mad_u32_u24 v10, 0x5a0, v29, 0
	v_lshlrev_b32_sdwa v15, v31, v28 dst_sel:DWORD dst_unused:UNUSED_PAD src0_sel:DWORD src1_sel:BYTE_0
	v_add_f16_e32 v7, v11, v13
	v_add_f16_e32 v24, v24, v30
	;; [unrolled: 1-line block ×3, first 2 shown]
	v_pack_b32_f16 v6, v6, v9
	v_add3_u32 v10, v10, v15, v18
	v_pack_b32_f16 v7, v7, v12
	v_perm_b32 v9, v22, v17, 0x5040100
	v_pack_b32_f16 v8, v8, v24
	v_perm_b32 v11, v27, v25, 0x5040100
	v_perm_b32 v12, v26, v23, 0x5040100
	v_add_nc_u32_e32 v13, 0x200, v10
	ds_write2_b32 v10, v6, v7 offset1:60
	ds_write2_b32 v10, v8, v9 offset0:120 offset1:180
	ds_write2_b32 v13, v11, v12 offset0:112 offset1:172
.LBB0_25:
	s_or_b32 exec_lo, exec_lo, s1
	v_add_nc_u32_e32 v6, 0x400, v19
	v_add_nc_u32_e32 v7, 0x800, v19
	;; [unrolled: 1-line block ×3, first 2 shown]
	s_waitcnt lgkmcnt(0)
	s_barrier
	buffer_gl0_inv
	ds_read_b32 v20, v20
	ds_read2_b32 v[14:15], v6 offset0:104 offset1:212
	ds_read2_b32 v[10:11], v7 offset0:64 offset1:208
	;; [unrolled: 1-line block ×4, first 2 shown]
	v_mul_i32_i24_e32 v24, 0xffffffec, v5
	v_cmp_gt_u32_e64 s0, 36, v5
	s_and_saveexec_b32 s1, s0
	s_cbranch_execz .LBB0_27
; %bb.26:
	ds_read_b32 v17, v19 offset:1296
	ds_read_b32 v23, v19 offset:4176
	;; [unrolled: 1-line block ×3, first 2 shown]
	s_waitcnt lgkmcnt(2)
	v_lshrrev_b32_e32 v22, 16, v17
	s_waitcnt lgkmcnt(1)
	v_lshrrev_b32_e32 v26, 16, v23
	;; [unrolled: 2-line block ×3, first 2 shown]
.LBB0_27:
	s_or_b32 exec_lo, exec_lo, s1
	v_mov_b32_e32 v9, 0
	v_lshlrev_b32_e32 v8, 1, v5
	v_lshlrev_b32_e32 v30, 1, v16
	s_waitcnt lgkmcnt(3)
	v_lshrrev_b32_e32 v36, 16, v14
	s_waitcnt lgkmcnt(2)
	v_lshrrev_b32_e32 v38, 16, v11
	v_mov_b32_e32 v31, v9
	v_lshlrev_b64 v[28:29], 2, v[8:9]
	v_add_nc_u32_e32 v8, 0x1b0, v8
	s_waitcnt lgkmcnt(0)
	v_lshrrev_b32_e32 v35, 16, v12
	v_lshrrev_b32_e32 v37, 16, v15
	v_lshlrev_b64 v[30:31], 2, v[30:31]
	v_add3_u32 v18, v21, v24, v18
	v_add_co_u32 v28, s1, s12, v28
	v_lshlrev_b64 v[32:33], 2, v[8:9]
	v_add_co_ci_u32_e64 v29, s1, s13, v29, s1
	v_add_co_u32 v30, s1, s12, v30
	v_add_co_ci_u32_e64 v31, s1, s13, v31, s1
	v_add_co_u32 v32, s1, s12, v32
	global_load_dwordx2 v[28:29], v[28:29], off offset:1416
	v_add_co_ci_u32_e64 v33, s1, s13, v33, s1
	s_clause 0x1
	global_load_dwordx2 v[30:31], v[30:31], off offset:1416
	global_load_dwordx2 v[32:33], v[32:33], off offset:1416
	v_lshrrev_b32_e32 v21, 16, v13
	v_lshrrev_b32_e32 v24, 16, v10
	v_lshrrev_b32_e32 v8, 16, v20
	v_lshrrev_b32_e32 v16, 16, v6
	v_lshrrev_b32_e32 v34, 16, v7
	s_waitcnt vmcnt(0)
	s_barrier
	buffer_gl0_inv
	v_mul_f16_sdwa v39, v28, v36 dst_sel:DWORD dst_unused:UNUSED_PAD src0_sel:WORD_1 src1_sel:DWORD
	v_mul_f16_sdwa v40, v28, v14 dst_sel:DWORD dst_unused:UNUSED_PAD src0_sel:WORD_1 src1_sel:DWORD
	;; [unrolled: 1-line block ×4, first 2 shown]
	v_fma_f16 v14, v28, v14, -v39
	v_fmac_f16_e32 v40, v28, v36
	v_fma_f16 v11, v29, v11, -v41
	v_fmac_f16_e32 v42, v29, v38
	v_mul_f16_sdwa v36, v31, v35 dst_sel:DWORD dst_unused:UNUSED_PAD src0_sel:WORD_1 src1_sel:DWORD
	v_mul_f16_sdwa v38, v31, v12 dst_sel:DWORD dst_unused:UNUSED_PAD src0_sel:WORD_1 src1_sel:DWORD
	;; [unrolled: 1-line block ×8, first 2 shown]
	v_fma_f16 v12, v31, v12, -v36
	v_fmac_f16_e32 v38, v31, v35
	v_fmac_f16_e32 v41, v32, v24
	v_add_f16_e32 v24, v14, v11
	v_add_f16_e32 v31, v40, v42
	v_fma_f16 v15, v30, v15, -v28
	v_fmac_f16_e32 v29, v30, v37
	v_fmac_f16_e32 v44, v33, v21
	v_add_f16_e32 v21, v20, v14
	v_add_f16_e32 v30, v8, v40
	v_fma_f16 v10, v32, v10, -v39
	v_fma_f16 v13, v33, v13, -v43
	v_sub_f16_e32 v28, v40, v42
	v_sub_f16_e32 v14, v14, v11
	v_fmac_f16_e32 v20, -0.5, v24
	v_fmac_f16_e32 v8, -0.5, v31
	v_add_f16_e32 v24, v6, v15
	v_add_f16_e32 v32, v16, v29
	;; [unrolled: 1-line block ×5, first 2 shown]
	v_sub_f16_e32 v31, v29, v38
	v_add_f16_e32 v29, v29, v38
	v_add_f16_e32 v33, v7, v10
	;; [unrolled: 1-line block ×5, first 2 shown]
	v_fmamk_f16 v40, v28, 0x3aee, v20
	v_fmac_f16_e32 v20, 0xbaee, v28
	v_fmamk_f16 v28, v14, 0xbaee, v8
	v_fmac_f16_e32 v8, 0x3aee, v14
	v_sub_f16_e32 v15, v15, v12
	v_add_f16_e32 v12, v24, v12
	v_add_f16_e32 v14, v32, v38
	v_fma_f16 v6, -0.5, v30, v6
	v_fmac_f16_e32 v16, -0.5, v29
	v_sub_f16_e32 v36, v41, v44
	v_sub_f16_e32 v10, v10, v13
	v_add_f16_e32 v13, v33, v13
	v_fmac_f16_e32 v7, -0.5, v35
	v_add_f16_e32 v24, v37, v44
	v_fmac_f16_e32 v34, -0.5, v39
	v_pack_b32_f16 v28, v40, v28
	v_pack_b32_f16 v8, v20, v8
	;; [unrolled: 1-line block ×4, first 2 shown]
	v_fmamk_f16 v21, v31, 0x3aee, v6
	v_fmamk_f16 v29, v15, 0xbaee, v16
	v_fmac_f16_e32 v6, 0xbaee, v31
	v_fmac_f16_e32 v16, 0x3aee, v15
	v_fmamk_f16 v15, v36, 0x3aee, v7
	v_fmac_f16_e32 v7, 0xbaee, v36
	v_fmamk_f16 v30, v10, 0xbaee, v34
	v_fmac_f16_e32 v34, 0x3aee, v10
	v_pack_b32_f16 v10, v13, v24
	ds_write_b32 v19, v28 offset:1440
	ds_write_b32 v19, v8 offset:2880
	ds_write2_b32 v19, v11, v12 offset1:108
	ds_write_b16 v18, v21 offset:1872
	ds_write_b16 v18, v29 offset:1874
	;; [unrolled: 1-line block ×4, first 2 shown]
	ds_write_b32 v19, v10 offset:864
	ds_write_b16 v18, v15 offset:2304
	ds_write_b16 v18, v30 offset:2306
	;; [unrolled: 1-line block ×4, first 2 shown]
	s_and_saveexec_b32 s1, s0
	s_cbranch_execz .LBB0_29
; %bb.28:
	v_mov_b32_e32 v6, 0x144
	v_cndmask_b32_e64 v6, 0xffffffdc, v6, s0
	v_add_lshl_u32 v8, v5, v6, 1
	v_lshlrev_b64 v[6:7], 2, v[8:9]
	v_add_co_u32 v6, s0, s12, v6
	v_add_co_ci_u32_e64 v7, s0, s13, v7, s0
	global_load_dwordx2 v[6:7], v[6:7], off offset:1416
	s_waitcnt vmcnt(0)
	v_mul_f16_sdwa v8, v27, v6 dst_sel:DWORD dst_unused:UNUSED_PAD src0_sel:DWORD src1_sel:WORD_1
	v_mul_f16_sdwa v9, v25, v6 dst_sel:DWORD dst_unused:UNUSED_PAD src0_sel:DWORD src1_sel:WORD_1
	;; [unrolled: 1-line block ×4, first 2 shown]
	v_fma_f16 v8, v25, v6, -v8
	v_fmac_f16_e32 v9, v27, v6
	v_fmac_f16_e32 v10, v26, v7
	v_fma_f16 v6, v23, v7, -v11
	v_add_f16_e32 v13, v22, v9
	v_add_f16_e32 v7, v9, v10
	;; [unrolled: 1-line block ×3, first 2 shown]
	v_sub_f16_e32 v11, v8, v6
	v_add_f16_e32 v8, v17, v8
	v_sub_f16_e32 v9, v9, v10
	v_fma_f16 v7, -0.5, v7, v22
	v_fma_f16 v12, -0.5, v12, v17
	v_add_f16_e32 v10, v13, v10
	v_add_f16_e32 v6, v8, v6
	v_fmamk_f16 v8, v11, 0x3aee, v7
	v_fmac_f16_e32 v7, 0xbaee, v11
	v_fmamk_f16 v11, v9, 0xbaee, v12
	v_fmac_f16_e32 v12, 0x3aee, v9
	v_pack_b32_f16 v6, v6, v10
	v_pack_b32_f16 v8, v11, v8
	;; [unrolled: 1-line block ×3, first 2 shown]
	ds_write_b32 v19, v6 offset:1296
	ds_write_b32 v19, v7 offset:2736
	;; [unrolled: 1-line block ×3, first 2 shown]
.LBB0_29:
	s_or_b32 exec_lo, exec_lo, s1
	s_waitcnt lgkmcnt(0)
	s_barrier
	buffer_gl0_inv
	s_and_saveexec_b32 s0, vcc_lo
	s_cbranch_execz .LBB0_31
; %bb.30:
	v_mul_lo_u32 v6, s3, v3
	v_mul_lo_u32 v7, s2, v4
	v_mad_u64_u32 v[3:4], null, s2, v3, 0
	v_lshl_add_u32 v19, v5, 2, v0
	v_lshlrev_b64 v[0:1], 2, v[1:2]
	v_add_nc_u32_e32 v9, 0xd8, v5
	v_add_nc_u32_e32 v13, 0x144, v5
	;; [unrolled: 1-line block ×3, first 2 shown]
	ds_read2_b32 v[11:12], v19 offset1:108
	v_add3_u32 v4, v4, v7, v6
	v_mov_b32_e32 v6, 0
	v_add_nc_u32_e32 v7, 0x6c, v5
	v_lshlrev_b64 v[2:3], 2, v[3:4]
	v_mov_b32_e32 v10, v6
	v_mov_b32_e32 v14, v6
	;; [unrolled: 1-line block ×3, first 2 shown]
	v_add_co_u32 v4, vcc_lo, s10, v2
	v_add_co_ci_u32_e32 v8, vcc_lo, s11, v3, vcc_lo
	v_lshlrev_b64 v[2:3], 2, v[5:6]
	v_add_co_u32 v20, vcc_lo, v4, v0
	v_add_co_ci_u32_e32 v21, vcc_lo, v8, v1, vcc_lo
	v_mov_b32_e32 v8, v6
	v_add_co_u32 v0, vcc_lo, v20, v2
	v_add_co_ci_u32_e32 v1, vcc_lo, v21, v3, vcc_lo
	v_lshlrev_b64 v[2:3], 2, v[7:8]
	v_add_nc_u32_e32 v4, 0x200, v19
	v_lshlrev_b64 v[7:8], 2, v[9:10]
	s_waitcnt lgkmcnt(0)
	global_store_dword v[0:1], v11, off
	v_add_nc_u32_e32 v11, 0x600, v19
	v_lshlrev_b64 v[9:10], 2, v[13:14]
	v_add_co_u32 v0, vcc_lo, v20, v2
	v_add_co_ci_u32_e32 v1, vcc_lo, v21, v3, vcc_lo
	ds_read2_b32 v[2:3], v4 offset0:88 offset1:196
	ds_read2_b32 v[15:16], v11 offset0:48 offset1:156
	v_add_nc_u32_e32 v13, 0x1b0, v5
	v_add_co_u32 v7, vcc_lo, v20, v7
	v_add_co_ci_u32_e32 v8, vcc_lo, v21, v8, vcc_lo
	v_lshlrev_b64 v[13:14], 2, v[13:14]
	v_add_co_u32 v9, vcc_lo, v20, v9
	v_add_co_ci_u32_e32 v10, vcc_lo, v21, v10, vcc_lo
	v_add_nc_u32_e32 v4, 0x800, v19
	v_add_co_u32 v13, vcc_lo, v20, v13
	v_add_co_ci_u32_e32 v14, vcc_lo, v21, v14, vcc_lo
	global_store_dword v[0:1], v12, off
	s_waitcnt lgkmcnt(1)
	global_store_dword v[7:8], v2, off
	global_store_dword v[9:10], v3, off
	s_waitcnt lgkmcnt(0)
	global_store_dword v[13:14], v15, off
	v_add_nc_u32_e32 v2, 0x288, v5
	v_mov_b32_e32 v3, v6
	ds_read2_b32 v[9:10], v4 offset0:136 offset1:244
	v_add_nc_u32_e32 v4, 0xc00, v19
	v_lshlrev_b64 v[0:1], 2, v[17:18]
	v_add_nc_u32_e32 v7, 0x2f4, v5
	v_mov_b32_e32 v8, v6
	v_lshlrev_b64 v[2:3], 2, v[2:3]
	v_add_nc_u32_e32 v11, 0x360, v5
	v_mov_b32_e32 v12, v6
	ds_read2_b32 v[13:14], v4 offset0:96 offset1:204
	v_add_co_u32 v0, vcc_lo, v20, v0
	v_lshlrev_b64 v[7:8], 2, v[7:8]
	v_add_nc_u32_e32 v5, 0x3cc, v5
	v_add_co_ci_u32_e32 v1, vcc_lo, v21, v1, vcc_lo
	v_add_co_u32 v2, vcc_lo, v20, v2
	v_lshlrev_b64 v[11:12], 2, v[11:12]
	v_add_co_ci_u32_e32 v3, vcc_lo, v21, v3, vcc_lo
	v_add_co_u32 v7, vcc_lo, v20, v7
	v_lshlrev_b64 v[4:5], 2, v[5:6]
	v_add_co_ci_u32_e32 v8, vcc_lo, v21, v8, vcc_lo
	v_add_co_u32 v11, vcc_lo, v20, v11
	v_add_co_ci_u32_e32 v12, vcc_lo, v21, v12, vcc_lo
	v_add_co_u32 v4, vcc_lo, v20, v4
	v_add_co_ci_u32_e32 v5, vcc_lo, v21, v5, vcc_lo
	global_store_dword v[0:1], v16, off
	s_waitcnt lgkmcnt(1)
	global_store_dword v[2:3], v9, off
	global_store_dword v[7:8], v10, off
	s_waitcnt lgkmcnt(0)
	global_store_dword v[11:12], v13, off
	global_store_dword v[4:5], v14, off
.LBB0_31:
	s_endpgm
	.section	.rodata,"a",@progbits
	.p2align	6, 0x0
	.amdhsa_kernel fft_rtc_fwd_len1080_factors_6_10_6_3_wgs_216_tpt_108_halfLds_half_op_CI_CI_unitstride_sbrr_C2R_dirReg
		.amdhsa_group_segment_fixed_size 0
		.amdhsa_private_segment_fixed_size 0
		.amdhsa_kernarg_size 104
		.amdhsa_user_sgpr_count 6
		.amdhsa_user_sgpr_private_segment_buffer 1
		.amdhsa_user_sgpr_dispatch_ptr 0
		.amdhsa_user_sgpr_queue_ptr 0
		.amdhsa_user_sgpr_kernarg_segment_ptr 1
		.amdhsa_user_sgpr_dispatch_id 0
		.amdhsa_user_sgpr_flat_scratch_init 0
		.amdhsa_user_sgpr_private_segment_size 0
		.amdhsa_wavefront_size32 1
		.amdhsa_uses_dynamic_stack 0
		.amdhsa_system_sgpr_private_segment_wavefront_offset 0
		.amdhsa_system_sgpr_workgroup_id_x 1
		.amdhsa_system_sgpr_workgroup_id_y 0
		.amdhsa_system_sgpr_workgroup_id_z 0
		.amdhsa_system_sgpr_workgroup_info 0
		.amdhsa_system_vgpr_workitem_id 0
		.amdhsa_next_free_vgpr 69
		.amdhsa_next_free_sgpr 27
		.amdhsa_reserve_vcc 1
		.amdhsa_reserve_flat_scratch 0
		.amdhsa_float_round_mode_32 0
		.amdhsa_float_round_mode_16_64 0
		.amdhsa_float_denorm_mode_32 3
		.amdhsa_float_denorm_mode_16_64 3
		.amdhsa_dx10_clamp 1
		.amdhsa_ieee_mode 1
		.amdhsa_fp16_overflow 0
		.amdhsa_workgroup_processor_mode 1
		.amdhsa_memory_ordered 1
		.amdhsa_forward_progress 0
		.amdhsa_shared_vgpr_count 0
		.amdhsa_exception_fp_ieee_invalid_op 0
		.amdhsa_exception_fp_denorm_src 0
		.amdhsa_exception_fp_ieee_div_zero 0
		.amdhsa_exception_fp_ieee_overflow 0
		.amdhsa_exception_fp_ieee_underflow 0
		.amdhsa_exception_fp_ieee_inexact 0
		.amdhsa_exception_int_div_zero 0
	.end_amdhsa_kernel
	.text
.Lfunc_end0:
	.size	fft_rtc_fwd_len1080_factors_6_10_6_3_wgs_216_tpt_108_halfLds_half_op_CI_CI_unitstride_sbrr_C2R_dirReg, .Lfunc_end0-fft_rtc_fwd_len1080_factors_6_10_6_3_wgs_216_tpt_108_halfLds_half_op_CI_CI_unitstride_sbrr_C2R_dirReg
                                        ; -- End function
	.section	.AMDGPU.csdata,"",@progbits
; Kernel info:
; codeLenInByte = 8028
; NumSgprs: 29
; NumVgprs: 69
; ScratchSize: 0
; MemoryBound: 0
; FloatMode: 240
; IeeeMode: 1
; LDSByteSize: 0 bytes/workgroup (compile time only)
; SGPRBlocks: 3
; VGPRBlocks: 8
; NumSGPRsForWavesPerEU: 29
; NumVGPRsForWavesPerEU: 69
; Occupancy: 12
; WaveLimiterHint : 1
; COMPUTE_PGM_RSRC2:SCRATCH_EN: 0
; COMPUTE_PGM_RSRC2:USER_SGPR: 6
; COMPUTE_PGM_RSRC2:TRAP_HANDLER: 0
; COMPUTE_PGM_RSRC2:TGID_X_EN: 1
; COMPUTE_PGM_RSRC2:TGID_Y_EN: 0
; COMPUTE_PGM_RSRC2:TGID_Z_EN: 0
; COMPUTE_PGM_RSRC2:TIDIG_COMP_CNT: 0
	.text
	.p2alignl 6, 3214868480
	.fill 48, 4, 3214868480
	.type	__hip_cuid_bf7d4f6a49df001f,@object ; @__hip_cuid_bf7d4f6a49df001f
	.section	.bss,"aw",@nobits
	.globl	__hip_cuid_bf7d4f6a49df001f
__hip_cuid_bf7d4f6a49df001f:
	.byte	0                               ; 0x0
	.size	__hip_cuid_bf7d4f6a49df001f, 1

	.ident	"AMD clang version 19.0.0git (https://github.com/RadeonOpenCompute/llvm-project roc-6.4.0 25133 c7fe45cf4b819c5991fe208aaa96edf142730f1d)"
	.section	".note.GNU-stack","",@progbits
	.addrsig
	.addrsig_sym __hip_cuid_bf7d4f6a49df001f
	.amdgpu_metadata
---
amdhsa.kernels:
  - .args:
      - .actual_access:  read_only
        .address_space:  global
        .offset:         0
        .size:           8
        .value_kind:     global_buffer
      - .offset:         8
        .size:           8
        .value_kind:     by_value
      - .actual_access:  read_only
        .address_space:  global
        .offset:         16
        .size:           8
        .value_kind:     global_buffer
      - .actual_access:  read_only
        .address_space:  global
        .offset:         24
        .size:           8
        .value_kind:     global_buffer
      - .actual_access:  read_only
        .address_space:  global
        .offset:         32
        .size:           8
        .value_kind:     global_buffer
      - .offset:         40
        .size:           8
        .value_kind:     by_value
      - .actual_access:  read_only
        .address_space:  global
        .offset:         48
        .size:           8
        .value_kind:     global_buffer
      - .actual_access:  read_only
        .address_space:  global
        .offset:         56
        .size:           8
        .value_kind:     global_buffer
      - .offset:         64
        .size:           4
        .value_kind:     by_value
      - .actual_access:  read_only
        .address_space:  global
        .offset:         72
        .size:           8
        .value_kind:     global_buffer
      - .actual_access:  read_only
        .address_space:  global
        .offset:         80
        .size:           8
        .value_kind:     global_buffer
      - .actual_access:  read_only
        .address_space:  global
        .offset:         88
        .size:           8
        .value_kind:     global_buffer
      - .actual_access:  write_only
        .address_space:  global
        .offset:         96
        .size:           8
        .value_kind:     global_buffer
    .group_segment_fixed_size: 0
    .kernarg_segment_align: 8
    .kernarg_segment_size: 104
    .language:       OpenCL C
    .language_version:
      - 2
      - 0
    .max_flat_workgroup_size: 216
    .name:           fft_rtc_fwd_len1080_factors_6_10_6_3_wgs_216_tpt_108_halfLds_half_op_CI_CI_unitstride_sbrr_C2R_dirReg
    .private_segment_fixed_size: 0
    .sgpr_count:     29
    .sgpr_spill_count: 0
    .symbol:         fft_rtc_fwd_len1080_factors_6_10_6_3_wgs_216_tpt_108_halfLds_half_op_CI_CI_unitstride_sbrr_C2R_dirReg.kd
    .uniform_work_group_size: 1
    .uses_dynamic_stack: false
    .vgpr_count:     69
    .vgpr_spill_count: 0
    .wavefront_size: 32
    .workgroup_processor_mode: 1
amdhsa.target:   amdgcn-amd-amdhsa--gfx1030
amdhsa.version:
  - 1
  - 2
...

	.end_amdgpu_metadata
